;; amdgpu-corpus repo=ROCm/rocFFT kind=compiled arch=gfx1030 opt=O3
	.text
	.amdgcn_target "amdgcn-amd-amdhsa--gfx1030"
	.amdhsa_code_object_version 6
	.protected	fft_rtc_back_len1536_factors_16_16_6_wgs_256_tpt_256_halfLds_sp_ip_CI_unitstride_sbrr_dirReg ; -- Begin function fft_rtc_back_len1536_factors_16_16_6_wgs_256_tpt_256_halfLds_sp_ip_CI_unitstride_sbrr_dirReg
	.globl	fft_rtc_back_len1536_factors_16_16_6_wgs_256_tpt_256_halfLds_sp_ip_CI_unitstride_sbrr_dirReg
	.p2align	8
	.type	fft_rtc_back_len1536_factors_16_16_6_wgs_256_tpt_256_halfLds_sp_ip_CI_unitstride_sbrr_dirReg,@function
fft_rtc_back_len1536_factors_16_16_6_wgs_256_tpt_256_halfLds_sp_ip_CI_unitstride_sbrr_dirReg: ; @fft_rtc_back_len1536_factors_16_16_6_wgs_256_tpt_256_halfLds_sp_ip_CI_unitstride_sbrr_dirReg
; %bb.0:
	s_clause 0x2
	s_load_dwordx4 s[8:11], s[4:5], 0x0
	s_load_dwordx2 s[2:3], s[4:5], 0x50
	s_load_dwordx2 s[12:13], s[4:5], 0x18
	v_mov_b32_e32 v1, 0
	v_mov_b32_e32 v5, 0
	v_mov_b32_e32 v3, s6
	v_mov_b32_e32 v6, 0
	v_mov_b32_e32 v4, v1
	s_waitcnt lgkmcnt(0)
	v_cmp_lt_u64_e64 s0, s[10:11], 2
	s_and_b32 vcc_lo, exec_lo, s0
	s_cbranch_vccnz .LBB0_8
; %bb.1:
	s_load_dwordx2 s[0:1], s[4:5], 0x10
	v_mov_b32_e32 v5, 0
	s_add_u32 s6, s12, 8
	v_mov_b32_e32 v6, 0
	s_addc_u32 s7, s13, 0
	s_mov_b64 s[16:17], 1
	s_waitcnt lgkmcnt(0)
	s_add_u32 s14, s0, 8
	s_addc_u32 s15, s1, 0
.LBB0_2:                                ; =>This Inner Loop Header: Depth=1
	s_load_dwordx2 s[18:19], s[14:15], 0x0
                                        ; implicit-def: $vgpr9_vgpr10
	s_mov_b32 s0, exec_lo
	s_waitcnt lgkmcnt(0)
	v_or_b32_e32 v2, s19, v4
	v_cmpx_ne_u64_e32 0, v[1:2]
	s_xor_b32 s1, exec_lo, s0
	s_cbranch_execz .LBB0_4
; %bb.3:                                ;   in Loop: Header=BB0_2 Depth=1
	v_cvt_f32_u32_e32 v2, s18
	v_cvt_f32_u32_e32 v7, s19
	s_sub_u32 s0, 0, s18
	s_subb_u32 s20, 0, s19
	v_fmac_f32_e32 v2, 0x4f800000, v7
	v_rcp_f32_e32 v2, v2
	v_mul_f32_e32 v2, 0x5f7ffffc, v2
	v_mul_f32_e32 v7, 0x2f800000, v2
	v_trunc_f32_e32 v7, v7
	v_fmac_f32_e32 v2, 0xcf800000, v7
	v_cvt_u32_f32_e32 v7, v7
	v_cvt_u32_f32_e32 v2, v2
	v_mul_lo_u32 v8, s0, v7
	v_mul_hi_u32 v9, s0, v2
	v_mul_lo_u32 v10, s20, v2
	v_add_nc_u32_e32 v8, v9, v8
	v_mul_lo_u32 v9, s0, v2
	v_add_nc_u32_e32 v8, v8, v10
	v_mul_hi_u32 v10, v2, v9
	v_mul_lo_u32 v11, v2, v8
	v_mul_hi_u32 v12, v2, v8
	v_mul_hi_u32 v13, v7, v9
	v_mul_lo_u32 v9, v7, v9
	v_mul_hi_u32 v14, v7, v8
	v_mul_lo_u32 v8, v7, v8
	v_add_co_u32 v10, vcc_lo, v10, v11
	v_add_co_ci_u32_e32 v11, vcc_lo, 0, v12, vcc_lo
	v_add_co_u32 v9, vcc_lo, v10, v9
	v_add_co_ci_u32_e32 v9, vcc_lo, v11, v13, vcc_lo
	v_add_co_ci_u32_e32 v10, vcc_lo, 0, v14, vcc_lo
	v_add_co_u32 v8, vcc_lo, v9, v8
	v_add_co_ci_u32_e32 v9, vcc_lo, 0, v10, vcc_lo
	v_add_co_u32 v2, vcc_lo, v2, v8
	v_add_co_ci_u32_e32 v7, vcc_lo, v7, v9, vcc_lo
	v_mul_hi_u32 v8, s0, v2
	v_mul_lo_u32 v10, s20, v2
	v_mul_lo_u32 v9, s0, v7
	v_add_nc_u32_e32 v8, v8, v9
	v_mul_lo_u32 v9, s0, v2
	v_add_nc_u32_e32 v8, v8, v10
	v_mul_hi_u32 v10, v2, v9
	v_mul_lo_u32 v11, v2, v8
	v_mul_hi_u32 v12, v2, v8
	v_mul_hi_u32 v13, v7, v9
	v_mul_lo_u32 v9, v7, v9
	v_mul_hi_u32 v14, v7, v8
	v_mul_lo_u32 v8, v7, v8
	v_add_co_u32 v10, vcc_lo, v10, v11
	v_add_co_ci_u32_e32 v11, vcc_lo, 0, v12, vcc_lo
	v_add_co_u32 v9, vcc_lo, v10, v9
	v_add_co_ci_u32_e32 v9, vcc_lo, v11, v13, vcc_lo
	v_add_co_ci_u32_e32 v10, vcc_lo, 0, v14, vcc_lo
	v_add_co_u32 v8, vcc_lo, v9, v8
	v_add_co_ci_u32_e32 v9, vcc_lo, 0, v10, vcc_lo
	v_add_co_u32 v2, vcc_lo, v2, v8
	v_add_co_ci_u32_e32 v11, vcc_lo, v7, v9, vcc_lo
	v_mul_hi_u32 v13, v3, v2
	v_mad_u64_u32 v[9:10], null, v4, v2, 0
	v_mad_u64_u32 v[7:8], null, v3, v11, 0
	;; [unrolled: 1-line block ×3, first 2 shown]
	v_add_co_u32 v2, vcc_lo, v13, v7
	v_add_co_ci_u32_e32 v7, vcc_lo, 0, v8, vcc_lo
	v_add_co_u32 v2, vcc_lo, v2, v9
	v_add_co_ci_u32_e32 v2, vcc_lo, v7, v10, vcc_lo
	v_add_co_ci_u32_e32 v7, vcc_lo, 0, v12, vcc_lo
	v_add_co_u32 v2, vcc_lo, v2, v11
	v_add_co_ci_u32_e32 v9, vcc_lo, 0, v7, vcc_lo
	v_mul_lo_u32 v10, s19, v2
	v_mad_u64_u32 v[7:8], null, s18, v2, 0
	v_mul_lo_u32 v11, s18, v9
	v_sub_co_u32 v7, vcc_lo, v3, v7
	v_add3_u32 v8, v8, v11, v10
	v_sub_nc_u32_e32 v10, v4, v8
	v_subrev_co_ci_u32_e64 v10, s0, s19, v10, vcc_lo
	v_add_co_u32 v11, s0, v2, 2
	v_add_co_ci_u32_e64 v12, s0, 0, v9, s0
	v_sub_co_u32 v13, s0, v7, s18
	v_sub_co_ci_u32_e32 v8, vcc_lo, v4, v8, vcc_lo
	v_subrev_co_ci_u32_e64 v10, s0, 0, v10, s0
	v_cmp_le_u32_e32 vcc_lo, s18, v13
	v_cmp_eq_u32_e64 s0, s19, v8
	v_cndmask_b32_e64 v13, 0, -1, vcc_lo
	v_cmp_le_u32_e32 vcc_lo, s19, v10
	v_cndmask_b32_e64 v14, 0, -1, vcc_lo
	v_cmp_le_u32_e32 vcc_lo, s18, v7
	;; [unrolled: 2-line block ×3, first 2 shown]
	v_cndmask_b32_e64 v15, 0, -1, vcc_lo
	v_cmp_eq_u32_e32 vcc_lo, s19, v10
	v_cndmask_b32_e64 v7, v15, v7, s0
	v_cndmask_b32_e32 v10, v14, v13, vcc_lo
	v_add_co_u32 v13, vcc_lo, v2, 1
	v_add_co_ci_u32_e32 v14, vcc_lo, 0, v9, vcc_lo
	v_cmp_ne_u32_e32 vcc_lo, 0, v10
	v_cndmask_b32_e32 v8, v14, v12, vcc_lo
	v_cndmask_b32_e32 v11, v13, v11, vcc_lo
	v_cmp_ne_u32_e32 vcc_lo, 0, v7
	v_cndmask_b32_e32 v10, v9, v8, vcc_lo
	v_cndmask_b32_e32 v9, v2, v11, vcc_lo
.LBB0_4:                                ;   in Loop: Header=BB0_2 Depth=1
	s_andn2_saveexec_b32 s0, s1
	s_cbranch_execz .LBB0_6
; %bb.5:                                ;   in Loop: Header=BB0_2 Depth=1
	v_cvt_f32_u32_e32 v2, s18
	s_sub_i32 s1, 0, s18
	v_mov_b32_e32 v10, v1
	v_rcp_iflag_f32_e32 v2, v2
	v_mul_f32_e32 v2, 0x4f7ffffe, v2
	v_cvt_u32_f32_e32 v2, v2
	v_mul_lo_u32 v7, s1, v2
	v_mul_hi_u32 v7, v2, v7
	v_add_nc_u32_e32 v2, v2, v7
	v_mul_hi_u32 v2, v3, v2
	v_mul_lo_u32 v7, v2, s18
	v_add_nc_u32_e32 v8, 1, v2
	v_sub_nc_u32_e32 v7, v3, v7
	v_subrev_nc_u32_e32 v9, s18, v7
	v_cmp_le_u32_e32 vcc_lo, s18, v7
	v_cndmask_b32_e32 v7, v7, v9, vcc_lo
	v_cndmask_b32_e32 v2, v2, v8, vcc_lo
	v_cmp_le_u32_e32 vcc_lo, s18, v7
	v_add_nc_u32_e32 v8, 1, v2
	v_cndmask_b32_e32 v9, v2, v8, vcc_lo
.LBB0_6:                                ;   in Loop: Header=BB0_2 Depth=1
	s_or_b32 exec_lo, exec_lo, s0
	s_load_dwordx2 s[0:1], s[6:7], 0x0
	v_mul_lo_u32 v2, v10, s18
	v_mul_lo_u32 v11, v9, s19
	v_mad_u64_u32 v[7:8], null, v9, s18, 0
	s_add_u32 s16, s16, 1
	s_addc_u32 s17, s17, 0
	s_add_u32 s6, s6, 8
	s_addc_u32 s7, s7, 0
	;; [unrolled: 2-line block ×3, first 2 shown]
	v_add3_u32 v2, v8, v11, v2
	v_sub_co_u32 v3, vcc_lo, v3, v7
	v_sub_co_ci_u32_e32 v2, vcc_lo, v4, v2, vcc_lo
	s_waitcnt lgkmcnt(0)
	v_mul_lo_u32 v4, s1, v3
	v_mul_lo_u32 v2, s0, v2
	v_mad_u64_u32 v[5:6], null, s0, v3, v[5:6]
	v_cmp_ge_u64_e64 s0, s[16:17], s[10:11]
	s_and_b32 vcc_lo, exec_lo, s0
	v_add3_u32 v6, v4, v6, v2
	s_cbranch_vccnz .LBB0_9
; %bb.7:                                ;   in Loop: Header=BB0_2 Depth=1
	v_mov_b32_e32 v3, v9
	v_mov_b32_e32 v4, v10
	s_branch .LBB0_2
.LBB0_8:
	v_mov_b32_e32 v10, v4
	v_mov_b32_e32 v9, v3
.LBB0_9:
	s_lshl_b64 s[0:1], s[10:11], 3
	v_mov_b32_e32 v2, 0
	s_add_u32 s0, s12, s0
	s_addc_u32 s1, s13, s1
	v_mov_b32_e32 v39, 0
	s_load_dwordx2 s[0:1], s[0:1], 0x0
	s_load_dwordx2 s[4:5], s[4:5], 0x20
	v_mov_b32_e32 v1, 0
	v_mov_b32_e32 v15, 0
	;; [unrolled: 1-line block ×14, first 2 shown]
                                        ; implicit-def: $vgpr27
                                        ; implicit-def: $vgpr31
                                        ; implicit-def: $vgpr23
                                        ; implicit-def: $vgpr35
                                        ; implicit-def: $vgpr29
                                        ; implicit-def: $vgpr33
                                        ; implicit-def: $vgpr25
	s_waitcnt lgkmcnt(0)
	v_mul_lo_u32 v7, s0, v10
	v_mul_lo_u32 v11, s1, v9
	v_mad_u64_u32 v[5:6], null, s0, v9, v[5:6]
	v_cmp_gt_u64_e32 vcc_lo, s[4:5], v[9:10]
	v_add3_u32 v6, v11, v6, v7
	v_mov_b32_e32 v7, 0
                                        ; implicit-def: $vgpr11
	s_and_saveexec_b32 s1, vcc_lo
	s_cbranch_execz .LBB0_13
; %bb.10:
	v_cmp_gt_u32_e64 s0, 0x60, v0
	v_mov_b32_e32 v7, 0
	v_mov_b32_e32 v8, 0
	;; [unrolled: 1-line block ×16, first 2 shown]
                                        ; implicit-def: $vgpr24
                                        ; implicit-def: $vgpr32
                                        ; implicit-def: $vgpr28
                                        ; implicit-def: $vgpr34
                                        ; implicit-def: $vgpr22
                                        ; implicit-def: $vgpr30
                                        ; implicit-def: $vgpr26
                                        ; implicit-def: $vgpr10
	s_and_saveexec_b32 s4, s0
	s_cbranch_execz .LBB0_12
; %bb.11:
	v_lshlrev_b64 v[1:2], 3, v[5:6]
	v_lshlrev_b32_e32 v11, 3, v0
	v_lshl_or_b32 v22, v0, 3, 0x1800
	v_add_co_u32 v26, s0, s2, v1
	v_add_co_ci_u32_e64 v27, s0, s3, v2, s0
	v_or_b32_e32 v1, 0xc00, v11
	v_add_co_u32 v9, s0, v26, v11
	v_add_co_ci_u32_e64 v10, s0, 0, v27, s0
	v_or_b32_e32 v11, 0x2400, v11
	v_add_co_u32 v18, s0, 0x800, v9
	v_add_co_ci_u32_e64 v19, s0, 0, v10, s0
	v_add_co_u32 v3, s0, v26, v1
	v_add_co_ci_u32_e64 v4, s0, 0, v27, s0
	;; [unrolled: 2-line block ×8, first 2 shown]
	s_clause 0xf
	global_load_dwordx2 v[1:2], v[9:10], off
	global_load_dwordx2 v[14:15], v[9:10], off offset:768
	global_load_dwordx2 v[16:17], v[9:10], off offset:1536
	;; [unrolled: 1-line block ×5, first 2 shown]
	global_load_dwordx2 v[3:4], v[3:4], off
	global_load_dwordx2 v[18:19], v[18:19], off offset:1792
	global_load_dwordx2 v[10:11], v[22:23], off
	global_load_dwordx2 v[26:27], v[24:25], off offset:768
	global_load_dwordx2 v[30:31], v[24:25], off offset:1536
	;; [unrolled: 1-line block ×5, first 2 shown]
	global_load_dwordx2 v[34:35], v[34:35], off
	global_load_dwordx2 v[28:29], v[28:29], off offset:1792
.LBB0_12:
	s_or_b32 exec_lo, exec_lo, s4
	v_mov_b32_e32 v39, v0
.LBB0_13:
	s_or_b32 exec_lo, exec_lo, s1
	s_waitcnt vmcnt(7)
	v_sub_f32_e32 v9, v1, v10
	s_waitcnt vmcnt(1)
	v_sub_f32_e32 v34, v3, v34
	v_sub_f32_e32 v10, v16, v30
	;; [unrolled: 1-line block ×4, first 2 shown]
	v_fma_f32 v31, v1, 2.0, -v9
	v_fma_f32 v3, v3, 2.0, -v34
	v_sub_f32_e32 v32, v21, v33
	v_fma_f32 v16, v16, 2.0, -v10
	v_fma_f32 v1, v17, 2.0, -v30
	;; [unrolled: 1-line block ×3, first 2 shown]
	v_sub_f32_e32 v20, v14, v26
	v_sub_f32_e32 v26, v15, v27
	s_waitcnt vmcnt(0)
	v_sub_f32_e32 v27, v18, v28
	v_sub_f32_e32 v28, v19, v29
	;; [unrolled: 1-line block ×3, first 2 shown]
	v_fma_f32 v21, v21, 2.0, -v32
	v_fma_f32 v14, v14, 2.0, -v20
	v_sub_f32_e32 v22, v12, v22
	v_fma_f32 v15, v15, 2.0, -v26
	v_fma_f32 v18, v18, 2.0, -v27
	;; [unrolled: 1-line block ×3, first 2 shown]
	v_sub_f32_e32 v23, v13, v23
	v_sub_f32_e32 v24, v7, v24
	;; [unrolled: 1-line block ×5, first 2 shown]
	v_add_f32_e32 v32, v10, v32
	v_fma_f32 v29, v12, 2.0, -v22
	v_fma_f32 v33, v13, 2.0, -v23
	v_add_f32_e32 v38, v9, v35
	v_fma_f32 v7, v7, 2.0, -v24
	v_fma_f32 v8, v8, 2.0, -v25
	;; [unrolled: 1-line block ×3, first 2 shown]
	v_sub_f32_e32 v12, v1, v21
	v_fma_f32 v16, v16, 2.0, -v3
	v_sub_f32_e32 v17, v14, v18
	v_fma_f32 v42, v10, 2.0, -v32
	v_sub_f32_e32 v10, v15, v19
	v_add_f32_e32 v18, v20, v28
	v_add_f32_e32 v25, v22, v25
	v_sub_f32_e32 v24, v23, v24
	v_fma_f32 v9, v9, 2.0, -v38
	v_sub_f32_e32 v40, v30, v36
	v_sub_f32_e32 v21, v26, v27
	v_fma_f32 v13, v15, 2.0, -v10
	v_fma_f32 v15, v20, 2.0, -v18
	v_sub_f32_e32 v8, v33, v8
	v_fma_f32 v22, v22, 2.0, -v25
	v_sub_f32_e32 v45, v31, v16
	v_fma_f32 v16, v23, 2.0, -v24
	v_add_f32_e32 v23, v37, v12
	v_fma_f32 v43, v30, 2.0, -v40
	v_sub_f32_e32 v7, v29, v7
	v_fma_f32 v20, v26, 2.0, -v21
	v_fmamk_f32 v41, v42, 0xbf3504f3, v9
	v_fma_f32 v28, v33, 2.0, -v8
	v_fmamk_f32 v46, v32, 0x3f3504f3, v38
	v_fmamk_f32 v33, v22, 0xbf3504f3, v15
	v_fma_f32 v52, v37, 2.0, -v23
	v_fmamk_f32 v37, v25, 0x3f3504f3, v18
	v_fma_f32 v19, v14, 2.0, -v17
	v_fma_f32 v26, v29, 2.0, -v7
	v_fmac_f32_e32 v41, 0x3f3504f3, v43
	v_fmac_f32_e32 v46, 0x3f3504f3, v40
	v_fmamk_f32 v14, v16, 0xbf3504f3, v20
	v_fmac_f32_e32 v33, 0x3f3504f3, v16
	v_sub_f32_e32 v29, v13, v28
	v_add_f32_e32 v44, v17, v8
	v_fmamk_f32 v28, v24, 0x3f3504f3, v21
	v_fmac_f32_e32 v37, 0x3f3504f3, v24
	v_fma_f32 v48, v9, 2.0, -v41
	v_sub_f32_e32 v27, v19, v26
	v_fma_f32 v26, v38, 2.0, -v46
	v_fmac_f32_e32 v14, 0xbf3504f3, v22
	v_fma_f32 v36, v15, 2.0, -v33
	v_sub_f32_e32 v49, v10, v7
	v_fma_f32 v50, v17, 2.0, -v44
	v_fmac_f32_e32 v28, 0xbf3504f3, v25
	v_fma_f32 v38, v18, 2.0, -v37
	v_fma_f32 v47, v31, 2.0, -v45
	;; [unrolled: 1-line block ×5, first 2 shown]
	v_fmamk_f32 v8, v36, 0xbf6c835e, v48
	v_fmamk_f32 v15, v50, 0xbf3504f3, v52
	v_fma_f32 v30, v21, 2.0, -v28
	v_fmamk_f32 v16, v38, 0xbec3ef15, v26
	v_fmamk_f32 v18, v33, 0x3ec3ef15, v41
	;; [unrolled: 1-line block ×4, first 2 shown]
	v_sub_f32_e32 v7, v47, v9
	v_fmac_f32_e32 v8, 0x3ec3ef15, v31
	v_fmac_f32_e32 v15, 0x3f3504f3, v51
	;; [unrolled: 1-line block ×3, first 2 shown]
	v_add_f32_e32 v17, v45, v29
	v_fmac_f32_e32 v18, 0x3f6c835e, v14
	v_fmac_f32_e32 v19, 0x3f3504f3, v49
	;; [unrolled: 1-line block ×3, first 2 shown]
	v_fma_f32 v9, v47, 2.0, -v7
	v_fma_f32 v10, v48, 2.0, -v8
	;; [unrolled: 1-line block ×8, first 2 shown]
	v_cmp_gt_u32_e64 s0, 0x60, v0
	v_lshl_add_u32 v41, v0, 6, 0
	s_and_saveexec_b32 s1, s0
	s_cbranch_execz .LBB0_15
; %bb.14:
	ds_write2_b64 v41, v[9:10], v[21:22] offset1:1
	ds_write2_b64 v41, v[25:26], v[23:24] offset0:2 offset1:3
	ds_write2_b64 v41, v[7:8], v[15:16] offset0:4 offset1:5
	;; [unrolled: 1-line block ×3, first 2 shown]
.LBB0_15:
	s_or_b32 exec_lo, exec_lo, s1
	v_mul_f32_e32 v45, 0x3f3504f3, v42
	v_mul_f32_e32 v47, 0x3f3504f3, v43
	;; [unrolled: 1-line block ×8, first 2 shown]
	v_lshl_add_u32 v40, v0, 2, 0
	s_waitcnt lgkmcnt(0)
	s_barrier
	buffer_gl0_inv
	s_and_saveexec_b32 s1, s0
	s_cbranch_execz .LBB0_17
; %bb.16:
	v_add_nc_u32_e32 v7, 0x200, v40
	v_add_nc_u32_e32 v8, 0x400, v40
	;; [unrolled: 1-line block ×3, first 2 shown]
	ds_read2_b32 v[9:10], v40 offset1:96
	v_add_nc_u32_e32 v16, 0xe00, v40
	ds_read2_b32 v[21:22], v7 offset0:64 offset1:160
	ds_read2_b32 v[25:26], v8 offset0:128 offset1:224
	v_add_nc_u32_e32 v7, 0xc00, v40
	v_add_nc_u32_e32 v17, 0x1000, v40
	;; [unrolled: 1-line block ×3, first 2 shown]
	ds_read2_b32 v[23:24], v15 offset0:64 offset1:160
	ds_read2_b32 v[7:8], v7 offset1:96
	ds_read2_b32 v[15:16], v16 offset0:64 offset1:160
	ds_read2_b32 v[17:18], v17 offset0:128 offset1:224
	;; [unrolled: 1-line block ×3, first 2 shown]
.LBB0_17:
	s_or_b32 exec_lo, exec_lo, s1
	v_sub_f32_e32 v11, v2, v11
	v_fma_f32 v4, v4, 2.0, -v35
	v_fma_f32 v1, v1, 2.0, -v12
	v_fma_f32 v13, v13, 2.0, -v29
	s_waitcnt lgkmcnt(0)
	v_sub_f32_e32 v34, v11, v34
	v_fma_f32 v2, v2, 2.0, -v11
	s_barrier
	buffer_gl0_inv
	v_fma_f32 v11, v11, 2.0, -v34
	v_sub_f32_e32 v4, v2, v4
	v_add_f32_e32 v35, v34, v48
	v_sub_f32_e32 v12, v11, v47
	v_fma_f32 v2, v2, 2.0, -v4
	v_sub_f32_e32 v3, v4, v3
	v_sub_f32_e32 v46, v35, v46
	;; [unrolled: 1-line block ×4, first 2 shown]
	v_fma_f32 v4, v4, 2.0, -v3
	v_fma_f32 v34, v34, 2.0, -v46
	v_add_f32_e32 v35, v3, v44
	v_fma_f32 v44, v11, 2.0, -v12
	v_fmamk_f32 v28, v28, 0x3f6c835e, v46
	v_fma_f32 v2, v2, 2.0, -v1
	v_sub_f32_e32 v11, v4, v32
	v_fmamk_f32 v32, v30, 0xbec3ef15, v34
	v_fmamk_f32 v30, v14, 0x3ec3ef15, v12
	;; [unrolled: 1-line block ×3, first 2 shown]
	v_sub_f32_e32 v29, v1, v27
	v_sub_f32_e32 v27, v35, v43
	v_fmac_f32_e32 v28, 0xbec3ef15, v37
	v_sub_f32_e32 v13, v2, v13
	v_sub_f32_e32 v31, v11, v42
	v_fmac_f32_e32 v32, 0xbf6c835e, v38
	v_fmac_f32_e32 v30, 0xbf6c835e, v33
	;; [unrolled: 1-line block ×3, first 2 shown]
	v_fma_f32 v35, v1, 2.0, -v29
	v_fma_f32 v33, v3, 2.0, -v27
	;; [unrolled: 1-line block ×8, first 2 shown]
	s_and_saveexec_b32 s1, s0
	s_cbranch_execz .LBB0_19
; %bb.18:
	ds_write2_b64 v41, v[11:12], v[37:38] offset1:1
	ds_write2_b64 v41, v[35:36], v[33:34] offset0:2 offset1:3
	ds_write2_b64 v41, v[13:14], v[31:32] offset0:4 offset1:5
	;; [unrolled: 1-line block ×3, first 2 shown]
.LBB0_19:
	s_or_b32 exec_lo, exec_lo, s1
	s_waitcnt lgkmcnt(0)
	s_barrier
	buffer_gl0_inv
	s_and_saveexec_b32 s1, s0
	s_cbranch_execz .LBB0_21
; %bb.20:
	v_add_nc_u32_e32 v1, 0x200, v40
	v_add_nc_u32_e32 v2, 0x400, v40
	v_add_nc_u32_e32 v3, 0x800, v40
	ds_read2_b32 v[11:12], v40 offset1:96
	v_add_nc_u32_e32 v4, 0x1000, v40
	ds_read2_b32 v[37:38], v1 offset0:64 offset1:160
	ds_read2_b32 v[35:36], v2 offset0:128 offset1:224
	v_add_nc_u32_e32 v1, 0xc00, v40
	v_add_nc_u32_e32 v2, 0xe00, v40
	;; [unrolled: 1-line block ×3, first 2 shown]
	ds_read2_b32 v[33:34], v3 offset0:64 offset1:160
	ds_read2_b32 v[13:14], v1 offset1:96
	ds_read2_b32 v[31:32], v2 offset0:64 offset1:160
	ds_read2_b32 v[29:30], v4 offset0:128 offset1:224
	;; [unrolled: 1-line block ×3, first 2 shown]
.LBB0_21:
	s_or_b32 exec_lo, exec_lo, s1
	v_and_b32_e32 v41, 15, v0
	v_mul_u32_u24_e32 v1, 15, v41
	v_lshlrev_b32_e32 v58, 3, v1
	s_clause 0x4
	global_load_dwordx4 v[1:4], v58, s[8:9]
	global_load_dwordx4 v[42:45], v58, s[8:9] offset:16
	global_load_dwordx4 v[46:49], v58, s[8:9] offset:32
	;; [unrolled: 1-line block ×4, first 2 shown]
	s_waitcnt vmcnt(4) lgkmcnt(7)
	v_mul_f32_e32 v59, v12, v2
	v_mul_f32_e32 v2, v10, v2
	s_waitcnt lgkmcnt(6)
	v_mul_f32_e32 v60, v37, v4
	v_mul_f32_e32 v4, v21, v4
	s_waitcnt vmcnt(3)
	v_mul_f32_e32 v61, v38, v43
	v_mul_f32_e32 v43, v22, v43
	v_fmac_f32_e32 v59, v10, v1
	v_fma_f32 v62, v12, v1, -v2
	v_fmac_f32_e32 v60, v21, v3
	v_fma_f32 v63, v37, v3, -v4
	global_load_dwordx4 v[1:4], v58, s[8:9] offset:48
	s_waitcnt lgkmcnt(5)
	v_mul_f32_e32 v37, v35, v45
	v_mul_f32_e32 v10, v25, v45
	v_fmac_f32_e32 v61, v22, v42
	v_fma_f32 v38, v38, v42, -v43
	global_load_dwordx2 v[21:22], v58, s[8:9] offset:112
	v_fmac_f32_e32 v37, v25, v44
	v_fma_f32 v10, v35, v44, -v10
	global_load_dwordx4 v[42:45], v58, s[8:9] offset:96
	s_waitcnt vmcnt(5)
	v_mul_f32_e32 v64, v36, v47
	v_mul_f32_e32 v12, v26, v47
	s_waitcnt vmcnt(4) lgkmcnt(2)
	v_mul_f32_e32 v35, v31, v53
	s_waitcnt vmcnt(0) lgkmcnt(0)
	s_barrier
	v_fmac_f32_e32 v64, v26, v46
	v_fma_f32 v25, v36, v46, -v12
	v_mul_f32_e32 v26, v33, v49
	v_mul_f32_e32 v12, v23, v49
	;; [unrolled: 1-line block ×3, first 2 shown]
	v_fmac_f32_e32 v35, v15, v52
	buffer_gl0_inv
	v_fmac_f32_e32 v26, v23, v48
	v_fma_f32 v23, v33, v48, -v12
	v_mul_f32_e32 v33, v14, v51
	v_mul_f32_e32 v12, v8, v51
	v_fmac_f32_e32 v33, v8, v50
	v_fma_f32 v8, v14, v50, -v12
	v_fma_f32 v14, v31, v52, -v36
	v_mul_f32_e32 v31, v32, v55
	v_mul_f32_e32 v12, v16, v55
	;; [unrolled: 1-line block ×3, first 2 shown]
	v_sub_f32_e32 v8, v62, v8
	v_sub_f32_e32 v14, v63, v14
	v_fmac_f32_e32 v31, v16, v54
	v_fma_f32 v32, v32, v54, -v12
	v_mul_f32_e32 v15, v34, v2
	v_mul_f32_e32 v2, v24, v2
	v_fmac_f32_e32 v15, v24, v1
	v_mul_f32_e32 v24, v29, v57
	v_fma_f32 v2, v34, v1, -v2
	v_mul_f32_e32 v1, v30, v43
	v_mul_f32_e32 v34, v18, v43
	;; [unrolled: 1-line block ×6, first 2 shown]
	v_fmac_f32_e32 v24, v17, v56
	v_fma_f32 v17, v29, v56, -v36
	v_fmac_f32_e32 v1, v18, v42
	v_fma_f32 v18, v30, v42, -v34
	;; [unrolled: 2-line block ×4, first 2 shown]
	v_sub_f32_e32 v12, v37, v24
	v_sub_f32_e32 v16, v10, v17
	;; [unrolled: 1-line block ×12, first 2 shown]
	v_fma_f32 v1, v60, 2.0, -v21
	v_fma_f32 v26, v26, 2.0, -v17
	;; [unrolled: 1-line block ×11, first 2 shown]
	v_add_f32_e32 v19, v21, v19
	v_sub_f32_e32 v38, v14, v17
	v_add_f32_e32 v42, v22, v27
	v_sub_f32_e32 v44, v8, v24
	;; [unrolled: 2-line block ×3, first 2 shown]
	v_fma_f32 v18, v63, 2.0, -v14
	v_sub_f32_e32 v17, v1, v26
	v_fma_f32 v21, v21, 2.0, -v19
	v_fma_f32 v14, v14, 2.0, -v38
	v_sub_f32_e32 v26, v31, v34
	v_sub_f32_e32 v25, v32, v25
	v_fma_f32 v45, v22, 2.0, -v42
	v_fma_f32 v8, v8, 2.0, -v44
	v_sub_f32_e32 v15, v35, v15
	;; [unrolled: 4-line block ×3, first 2 shown]
	v_fmamk_f32 v20, v27, 0x3f3504f3, v42
	v_fmamk_f32 v22, v30, 0x3f3504f3, v44
	v_fma_f32 v2, v31, 2.0, -v26
	v_fma_f32 v31, v35, 2.0, -v15
	v_mul_f32_e32 v24, 0x3f3504f3, v21
	v_mul_f32_e32 v28, 0x3f3504f3, v14
	v_fmamk_f32 v21, v46, 0xbf3504f3, v45
	v_fmamk_f32 v23, v29, 0xbf3504f3, v8
	v_add_f32_e32 v14, v26, v43
	v_sub_f32_e32 v15, v25, v15
	v_mul_f32_e32 v34, 0x3f3504f3, v38
	v_fma_f32 v38, v32, 2.0, -v25
	v_fma_f32 v32, v36, 2.0, -v43
	v_fmac_f32_e32 v20, 0x3f3504f3, v30
	v_fmac_f32_e32 v22, 0xbf3504f3, v27
	v_sub_f32_e32 v27, v2, v31
	v_fmac_f32_e32 v21, 0x3f3504f3, v29
	v_fmac_f32_e32 v23, 0xbf3504f3, v46
	v_fma_f32 v31, v26, 2.0, -v14
	v_fma_f32 v35, v25, 2.0, -v15
	v_mul_f32_e32 v19, 0x3f3504f3, v19
	v_sub_f32_e32 v43, v38, v32
	v_fma_f32 v26, v42, 2.0, -v20
	v_fma_f32 v30, v44, 2.0, -v22
	v_mul_f32_e32 v32, 0x3f3504f3, v14
	v_mul_f32_e32 v36, 0x3f3504f3, v15
	v_fma_f32 v25, v45, 2.0, -v21
	v_fma_f32 v29, v8, 2.0, -v23
	v_mul_f32_e32 v31, 0x3f3504f3, v31
	v_mul_f32_e32 v35, 0x3f3504f3, v35
	v_lshlrev_b32_e32 v42, 4, v0
	s_and_saveexec_b32 s1, s0
	s_cbranch_execz .LBB0_23
; %bb.22:
	v_mul_f32_e32 v8, v13, v4
	v_fma_f32 v14, v37, 2.0, -v12
	v_fma_f32 v1, v1, 2.0, -v17
	;; [unrolled: 1-line block ×3, first 2 shown]
	v_and_or_b32 v44, 0x700, v42, v41
	v_fmac_f32_e32 v8, v7, v3
	v_lshl_add_u32 v44, v44, 2, 0
	v_sub_f32_e32 v8, v9, v8
	v_add_f32_e32 v15, v8, v16
	v_fma_f32 v9, v9, 2.0, -v8
	v_fma_f32 v8, v8, 2.0, -v15
	v_add_f32_e32 v37, v15, v19
	v_sub_f32_e32 v14, v9, v14
	v_sub_f32_e32 v46, v8, v24
	v_add_f32_e32 v37, v34, v37
	v_add_f32_e32 v45, v14, v33
	v_fma_f32 v9, v9, 2.0, -v14
	v_add_f32_e32 v46, v28, v46
	v_fma_f32 v15, v15, 2.0, -v37
	v_fma_f32 v14, v14, 2.0, -v45
	v_sub_f32_e32 v1, v9, v1
	v_fmamk_f32 v47, v20, 0x3f6c835e, v37
	v_fma_f32 v8, v8, 2.0, -v46
	v_add_f32_e32 v48, v45, v32
	v_fmamk_f32 v51, v26, 0xbec3ef15, v15
	v_sub_f32_e32 v52, v14, v31
	v_fmamk_f32 v49, v21, 0x3ec3ef15, v46
	v_fma_f32 v9, v9, 2.0, -v1
	v_fmamk_f32 v53, v25, 0xbf6c835e, v8
	v_fmac_f32_e32 v47, 0x3ec3ef15, v22
	v_add_f32_e32 v48, v36, v48
	v_fmac_f32_e32 v51, 0x3f6c835e, v30
	v_add_f32_e32 v52, v35, v52
	v_add_f32_e32 v50, v1, v43
	v_fmac_f32_e32 v49, 0x3f6c835e, v23
	v_sub_f32_e32 v2, v9, v2
	v_fmac_f32_e32 v53, 0x3ec3ef15, v29
	v_fma_f32 v37, v37, 2.0, -v47
	v_fma_f32 v45, v45, 2.0, -v48
	;; [unrolled: 1-line block ×8, first 2 shown]
	ds_write2_b32 v44, v45, v37 offset0:96 offset1:112
	ds_write2_b32 v44, v52, v51 offset0:160 offset1:176
	;; [unrolled: 1-line block ×6, first 2 shown]
	ds_write2_b32 v44, v9, v8 offset1:16
	ds_write2_b32 v44, v48, v47 offset0:224 offset1:240
.LBB0_23:
	s_or_b32 exec_lo, exec_lo, s1
	s_waitcnt lgkmcnt(0)
	s_barrier
	buffer_gl0_inv
	ds_read2st64_b32 v[1:2], v40 offset1:4
	ds_read2st64_b32 v[8:9], v40 offset0:8 offset1:12
	ds_read2st64_b32 v[14:15], v40 offset0:16 offset1:20
	s_waitcnt lgkmcnt(0)
	s_barrier
	buffer_gl0_inv
	s_and_saveexec_b32 s1, s0
	s_cbranch_execz .LBB0_25
; %bb.24:
	v_mul_f32_e32 v4, v7, v4
	v_fma_f32 v3, v13, v3, -v4
	v_fma_f32 v4, v10, 2.0, -v16
	v_and_or_b32 v16, 0x700, v42, v41
	v_sub_f32_e32 v3, v11, v3
	v_lshl_add_u32 v16, v16, 2, 0
	v_sub_f32_e32 v10, v3, v12
	v_fma_f32 v7, v11, 2.0, -v3
	v_fma_f32 v11, v18, 2.0, -v33
	;; [unrolled: 1-line block ×4, first 2 shown]
	v_sub_f32_e32 v4, v7, v4
	v_add_f32_e32 v13, v10, v34
	v_sub_f32_e32 v18, v3, v28
	v_sub_f32_e32 v17, v4, v17
	;; [unrolled: 1-line block ×3, first 2 shown]
	v_fma_f32 v7, v7, 2.0, -v4
	v_sub_f32_e32 v18, v18, v24
	v_fma_f32 v4, v4, 2.0, -v17
	v_fma_f32 v10, v10, 2.0, -v13
	v_sub_f32_e32 v11, v7, v11
	v_fmamk_f32 v22, v22, 0x3f6c835e, v13
	v_fma_f32 v3, v3, 2.0, -v18
	v_add_f32_e32 v19, v17, v36
	v_sub_f32_e32 v24, v4, v35
	v_fmamk_f32 v28, v30, 0xbec3ef15, v10
	v_fmamk_f32 v23, v23, 0x3ec3ef15, v18
	v_fma_f32 v7, v7, 2.0, -v11
	v_fmac_f32_e32 v22, 0xbec3ef15, v20
	v_fmamk_f32 v20, v29, 0xbf6c835e, v3
	v_sub_f32_e32 v19, v19, v32
	v_sub_f32_e32 v24, v24, v31
	v_fmac_f32_e32 v28, 0xbf6c835e, v26
	v_sub_f32_e32 v27, v11, v27
	v_fmac_f32_e32 v23, 0xbf6c835e, v21
	;; [unrolled: 2-line block ×3, first 2 shown]
	v_fma_f32 v17, v17, 2.0, -v19
	v_fma_f32 v13, v13, 2.0, -v22
	;; [unrolled: 1-line block ×8, first 2 shown]
	ds_write2_b32 v16, v17, v13 offset0:96 offset1:112
	ds_write2_b32 v16, v24, v28 offset0:160 offset1:176
	;; [unrolled: 1-line block ×6, first 2 shown]
	ds_write2_b32 v16, v7, v3 offset1:16
	ds_write2_b32 v16, v19, v22 offset0:224 offset1:240
.LBB0_25:
	s_or_b32 exec_lo, exec_lo, s1
	s_waitcnt lgkmcnt(0)
	s_barrier
	buffer_gl0_inv
	s_and_saveexec_b32 s0, vcc_lo
	s_cbranch_execz .LBB0_27
; %bb.26:
	v_mul_u32_u24_e32 v0, 5, v0
	v_lshlrev_b64 v[5:6], 3, v[5:6]
	v_lshlrev_b32_e32 v0, 3, v0
	s_clause 0x2
	global_load_dwordx4 v[10:13], v0, s[8:9] offset:1920
	global_load_dwordx4 v[16:19], v0, s[8:9] offset:1936
	global_load_dwordx2 v[3:4], v0, s[8:9] offset:1952
	v_lshlrev_b32_e32 v0, 3, v39
	ds_read2st64_b32 v[20:21], v40 offset1:4
	ds_read2st64_b32 v[22:23], v40 offset0:8 offset1:12
	ds_read2st64_b32 v[24:25], v40 offset0:16 offset1:20
	v_add_co_u32 v34, vcc_lo, s2, v5
	v_add_co_ci_u32_e32 v35, vcc_lo, s3, v6, vcc_lo
	v_or_b32_e32 v7, 0x800, v0
	v_add_co_u32 v5, vcc_lo, v34, v0
	v_or_b32_e32 v28, 0x1000, v0
	v_add_co_ci_u32_e32 v6, vcc_lo, 0, v35, vcc_lo
	v_add_co_u32 v26, vcc_lo, v34, v7
	v_or_b32_e32 v30, 0x1800, v0
	v_add_co_ci_u32_e32 v27, vcc_lo, 0, v35, vcc_lo
	;; [unrolled: 3-line block ×4, first 2 shown]
	v_add_co_u32 v32, vcc_lo, v34, v32
	v_add_co_ci_u32_e32 v33, vcc_lo, 0, v35, vcc_lo
	v_add_co_u32 v34, vcc_lo, v34, v36
	v_add_co_ci_u32_e32 v35, vcc_lo, 0, v35, vcc_lo
	s_waitcnt vmcnt(2)
	v_mul_f32_e32 v0, v8, v13
	s_waitcnt vmcnt(1)
	v_mul_f32_e32 v37, v9, v16
	s_waitcnt vmcnt(0)
	v_mul_f32_e32 v38, v15, v3
	v_mul_f32_e32 v9, v9, v17
	v_mul_f32_e32 v15, v15, v4
	;; [unrolled: 1-line block ×3, first 2 shown]
	s_waitcnt lgkmcnt(1)
	v_mul_f32_e32 v13, v22, v13
	s_waitcnt lgkmcnt(0)
	v_mul_f32_e32 v19, v24, v19
	v_mul_f32_e32 v36, v2, v10
	;; [unrolled: 1-line block ×3, first 2 shown]
	v_fmac_f32_e32 v38, v25, v4
	v_fma_f32 v4, v23, v16, -v9
	v_fma_f32 v3, v25, v3, -v15
	;; [unrolled: 1-line block ×4, first 2 shown]
	v_fmac_f32_e32 v13, v8, v12
	v_fmac_f32_e32 v19, v14, v18
	;; [unrolled: 1-line block ×4, first 2 shown]
	v_fma_f32 v2, v21, v10, -v2
	v_add_f32_e32 v12, v4, v3
	v_add_f32_e32 v8, v0, v7
	v_sub_f32_e32 v9, v13, v19
	v_add_f32_e32 v10, v37, v38
	v_sub_f32_e32 v14, v37, v38
	v_add_f32_e32 v15, v20, v0
	v_add_f32_e32 v16, v13, v19
	;; [unrolled: 1-line block ×4, first 2 shown]
	v_fma_f32 v12, -0.5, v12, v2
	v_sub_f32_e32 v11, v4, v3
	v_add_f32_e32 v4, v2, v4
	v_sub_f32_e32 v0, v0, v7
	v_fma_f32 v8, -0.5, v8, v20
	v_fma_f32 v10, -0.5, v10, v36
	v_add_f32_e32 v2, v15, v7
	v_add_f32_e32 v7, v13, v19
	;; [unrolled: 1-line block ×3, first 2 shown]
	v_fmamk_f32 v17, v14, 0xbf5db3d7, v12
	v_fmac_f32_e32 v12, 0x3f5db3d7, v14
	v_add_f32_e32 v3, v4, v3
	v_fma_f32 v4, -0.5, v16, v1
	v_fmamk_f32 v15, v9, 0xbf5db3d7, v8
	v_fmamk_f32 v16, v11, 0x3f5db3d7, v10
	v_fmac_f32_e32 v8, 0x3f5db3d7, v9
	v_fmac_f32_e32 v10, 0xbf5db3d7, v11
	v_mul_f32_e32 v9, -0.5, v17
	v_mul_f32_e32 v14, 0.5, v12
	v_mul_f32_e32 v12, 0xbf5db3d7, v12
	v_sub_f32_e32 v1, v2, v3
	v_fmamk_f32 v11, v0, 0x3f5db3d7, v4
	v_fmac_f32_e32 v4, 0xbf5db3d7, v0
	v_sub_f32_e32 v0, v7, v13
	v_add_f32_e32 v3, v2, v3
	v_add_f32_e32 v2, v7, v13
	v_mul_f32_e32 v13, 0xbf5db3d7, v17
	v_fmac_f32_e32 v9, 0x3f5db3d7, v16
	v_fmac_f32_e32 v14, 0x3f5db3d7, v10
	v_fmac_f32_e32 v12, 0.5, v10
	global_store_dwordx2 v[5:6], v[2:3], off
	v_fmac_f32_e32 v13, -0.5, v16
	v_sub_f32_e32 v3, v15, v9
	v_sub_f32_e32 v5, v8, v14
	v_add_f32_e32 v7, v15, v9
	v_add_f32_e32 v9, v8, v14
	;; [unrolled: 1-line block ×4, first 2 shown]
	v_sub_f32_e32 v4, v4, v12
	v_sub_f32_e32 v2, v11, v13
	global_store_dwordx2 v[30:31], v[0:1], off
	global_store_dwordx2 v[26:27], v[8:9], off
	;; [unrolled: 1-line block ×5, first 2 shown]
.LBB0_27:
	s_endpgm
	.section	.rodata,"a",@progbits
	.p2align	6, 0x0
	.amdhsa_kernel fft_rtc_back_len1536_factors_16_16_6_wgs_256_tpt_256_halfLds_sp_ip_CI_unitstride_sbrr_dirReg
		.amdhsa_group_segment_fixed_size 0
		.amdhsa_private_segment_fixed_size 0
		.amdhsa_kernarg_size 88
		.amdhsa_user_sgpr_count 6
		.amdhsa_user_sgpr_private_segment_buffer 1
		.amdhsa_user_sgpr_dispatch_ptr 0
		.amdhsa_user_sgpr_queue_ptr 0
		.amdhsa_user_sgpr_kernarg_segment_ptr 1
		.amdhsa_user_sgpr_dispatch_id 0
		.amdhsa_user_sgpr_flat_scratch_init 0
		.amdhsa_user_sgpr_private_segment_size 0
		.amdhsa_wavefront_size32 1
		.amdhsa_uses_dynamic_stack 0
		.amdhsa_system_sgpr_private_segment_wavefront_offset 0
		.amdhsa_system_sgpr_workgroup_id_x 1
		.amdhsa_system_sgpr_workgroup_id_y 0
		.amdhsa_system_sgpr_workgroup_id_z 0
		.amdhsa_system_sgpr_workgroup_info 0
		.amdhsa_system_vgpr_workitem_id 0
		.amdhsa_next_free_vgpr 65
		.amdhsa_next_free_sgpr 21
		.amdhsa_reserve_vcc 1
		.amdhsa_reserve_flat_scratch 0
		.amdhsa_float_round_mode_32 0
		.amdhsa_float_round_mode_16_64 0
		.amdhsa_float_denorm_mode_32 3
		.amdhsa_float_denorm_mode_16_64 3
		.amdhsa_dx10_clamp 1
		.amdhsa_ieee_mode 1
		.amdhsa_fp16_overflow 0
		.amdhsa_workgroup_processor_mode 1
		.amdhsa_memory_ordered 1
		.amdhsa_forward_progress 0
		.amdhsa_shared_vgpr_count 0
		.amdhsa_exception_fp_ieee_invalid_op 0
		.amdhsa_exception_fp_denorm_src 0
		.amdhsa_exception_fp_ieee_div_zero 0
		.amdhsa_exception_fp_ieee_overflow 0
		.amdhsa_exception_fp_ieee_underflow 0
		.amdhsa_exception_fp_ieee_inexact 0
		.amdhsa_exception_int_div_zero 0
	.end_amdhsa_kernel
	.text
.Lfunc_end0:
	.size	fft_rtc_back_len1536_factors_16_16_6_wgs_256_tpt_256_halfLds_sp_ip_CI_unitstride_sbrr_dirReg, .Lfunc_end0-fft_rtc_back_len1536_factors_16_16_6_wgs_256_tpt_256_halfLds_sp_ip_CI_unitstride_sbrr_dirReg
                                        ; -- End function
	.section	.AMDGPU.csdata,"",@progbits
; Kernel info:
; codeLenInByte = 5428
; NumSgprs: 23
; NumVgprs: 65
; ScratchSize: 0
; MemoryBound: 0
; FloatMode: 240
; IeeeMode: 1
; LDSByteSize: 0 bytes/workgroup (compile time only)
; SGPRBlocks: 2
; VGPRBlocks: 8
; NumSGPRsForWavesPerEU: 23
; NumVGPRsForWavesPerEU: 65
; Occupancy: 12
; WaveLimiterHint : 1
; COMPUTE_PGM_RSRC2:SCRATCH_EN: 0
; COMPUTE_PGM_RSRC2:USER_SGPR: 6
; COMPUTE_PGM_RSRC2:TRAP_HANDLER: 0
; COMPUTE_PGM_RSRC2:TGID_X_EN: 1
; COMPUTE_PGM_RSRC2:TGID_Y_EN: 0
; COMPUTE_PGM_RSRC2:TGID_Z_EN: 0
; COMPUTE_PGM_RSRC2:TIDIG_COMP_CNT: 0
	.text
	.p2alignl 6, 3214868480
	.fill 48, 4, 3214868480
	.type	__hip_cuid_a12191809189ba85,@object ; @__hip_cuid_a12191809189ba85
	.section	.bss,"aw",@nobits
	.globl	__hip_cuid_a12191809189ba85
__hip_cuid_a12191809189ba85:
	.byte	0                               ; 0x0
	.size	__hip_cuid_a12191809189ba85, 1

	.ident	"AMD clang version 19.0.0git (https://github.com/RadeonOpenCompute/llvm-project roc-6.4.0 25133 c7fe45cf4b819c5991fe208aaa96edf142730f1d)"
	.section	".note.GNU-stack","",@progbits
	.addrsig
	.addrsig_sym __hip_cuid_a12191809189ba85
	.amdgpu_metadata
---
amdhsa.kernels:
  - .args:
      - .actual_access:  read_only
        .address_space:  global
        .offset:         0
        .size:           8
        .value_kind:     global_buffer
      - .offset:         8
        .size:           8
        .value_kind:     by_value
      - .actual_access:  read_only
        .address_space:  global
        .offset:         16
        .size:           8
        .value_kind:     global_buffer
      - .actual_access:  read_only
        .address_space:  global
        .offset:         24
        .size:           8
        .value_kind:     global_buffer
      - .offset:         32
        .size:           8
        .value_kind:     by_value
      - .actual_access:  read_only
        .address_space:  global
        .offset:         40
        .size:           8
        .value_kind:     global_buffer
      - .actual_access:  read_only
        .address_space:  global
        .offset:         48
        .size:           8
        .value_kind:     global_buffer
      - .offset:         56
        .size:           4
        .value_kind:     by_value
      - .actual_access:  read_only
        .address_space:  global
        .offset:         64
        .size:           8
        .value_kind:     global_buffer
      - .actual_access:  read_only
        .address_space:  global
        .offset:         72
        .size:           8
        .value_kind:     global_buffer
      - .address_space:  global
        .offset:         80
        .size:           8
        .value_kind:     global_buffer
    .group_segment_fixed_size: 0
    .kernarg_segment_align: 8
    .kernarg_segment_size: 88
    .language:       OpenCL C
    .language_version:
      - 2
      - 0
    .max_flat_workgroup_size: 256
    .name:           fft_rtc_back_len1536_factors_16_16_6_wgs_256_tpt_256_halfLds_sp_ip_CI_unitstride_sbrr_dirReg
    .private_segment_fixed_size: 0
    .sgpr_count:     23
    .sgpr_spill_count: 0
    .symbol:         fft_rtc_back_len1536_factors_16_16_6_wgs_256_tpt_256_halfLds_sp_ip_CI_unitstride_sbrr_dirReg.kd
    .uniform_work_group_size: 1
    .uses_dynamic_stack: false
    .vgpr_count:     65
    .vgpr_spill_count: 0
    .wavefront_size: 32
    .workgroup_processor_mode: 1
amdhsa.target:   amdgcn-amd-amdhsa--gfx1030
amdhsa.version:
  - 1
  - 2
...

	.end_amdgpu_metadata
